;; amdgpu-corpus repo=ROCm/rocFFT kind=compiled arch=gfx906 opt=O3
	.text
	.amdgcn_target "amdgcn-amd-amdhsa--gfx906"
	.amdhsa_code_object_version 6
	.protected	fft_rtc_back_len968_factors_2_2_2_11_11_wgs_176_tpt_88_dp_ip_CI_unitstride_sbrr_C2R_dirReg ; -- Begin function fft_rtc_back_len968_factors_2_2_2_11_11_wgs_176_tpt_88_dp_ip_CI_unitstride_sbrr_C2R_dirReg
	.globl	fft_rtc_back_len968_factors_2_2_2_11_11_wgs_176_tpt_88_dp_ip_CI_unitstride_sbrr_C2R_dirReg
	.p2align	8
	.type	fft_rtc_back_len968_factors_2_2_2_11_11_wgs_176_tpt_88_dp_ip_CI_unitstride_sbrr_C2R_dirReg,@function
fft_rtc_back_len968_factors_2_2_2_11_11_wgs_176_tpt_88_dp_ip_CI_unitstride_sbrr_C2R_dirReg: ; @fft_rtc_back_len968_factors_2_2_2_11_11_wgs_176_tpt_88_dp_ip_CI_unitstride_sbrr_C2R_dirReg
; %bb.0:
	s_load_dwordx2 s[2:3], s[4:5], 0x50
	s_load_dwordx4 s[8:11], s[4:5], 0x0
	s_load_dwordx2 s[12:13], s[4:5], 0x18
	v_mul_u32_u24_e32 v1, 0x2e9, v0
	v_lshrrev_b32_e32 v9, 16, v1
	v_mov_b32_e32 v3, 0
	s_waitcnt lgkmcnt(0)
	v_cmp_lt_u64_e64 s[0:1], s[10:11], 2
	v_mov_b32_e32 v1, 0
	v_lshl_add_u32 v5, s6, 1, v9
	v_mov_b32_e32 v6, v3
	s_and_b64 vcc, exec, s[0:1]
	v_mov_b32_e32 v2, 0
	s_cbranch_vccnz .LBB0_8
; %bb.1:
	s_load_dwordx2 s[0:1], s[4:5], 0x10
	s_add_u32 s6, s12, 8
	s_addc_u32 s7, s13, 0
	v_mov_b32_e32 v1, 0
	v_mov_b32_e32 v2, 0
	s_waitcnt lgkmcnt(0)
	s_add_u32 s14, s0, 8
	s_addc_u32 s15, s1, 0
	s_mov_b64 s[16:17], 1
.LBB0_2:                                ; =>This Inner Loop Header: Depth=1
	s_load_dwordx2 s[18:19], s[14:15], 0x0
                                        ; implicit-def: $vgpr7_vgpr8
	s_waitcnt lgkmcnt(0)
	v_or_b32_e32 v4, s19, v6
	v_cmp_ne_u64_e32 vcc, 0, v[3:4]
	s_and_saveexec_b64 s[0:1], vcc
	s_xor_b64 s[20:21], exec, s[0:1]
	s_cbranch_execz .LBB0_4
; %bb.3:                                ;   in Loop: Header=BB0_2 Depth=1
	v_cvt_f32_u32_e32 v4, s18
	v_cvt_f32_u32_e32 v7, s19
	s_sub_u32 s0, 0, s18
	s_subb_u32 s1, 0, s19
	v_mac_f32_e32 v4, 0x4f800000, v7
	v_rcp_f32_e32 v4, v4
	v_mul_f32_e32 v4, 0x5f7ffffc, v4
	v_mul_f32_e32 v7, 0x2f800000, v4
	v_trunc_f32_e32 v7, v7
	v_mac_f32_e32 v4, 0xcf800000, v7
	v_cvt_u32_f32_e32 v7, v7
	v_cvt_u32_f32_e32 v4, v4
	v_mul_lo_u32 v8, s0, v7
	v_mul_hi_u32 v10, s0, v4
	v_mul_lo_u32 v12, s1, v4
	v_mul_lo_u32 v11, s0, v4
	v_add_u32_e32 v8, v10, v8
	v_add_u32_e32 v8, v8, v12
	v_mul_hi_u32 v10, v4, v11
	v_mul_lo_u32 v12, v4, v8
	v_mul_hi_u32 v14, v4, v8
	v_mul_hi_u32 v13, v7, v11
	v_mul_lo_u32 v11, v7, v11
	v_mul_hi_u32 v15, v7, v8
	v_add_co_u32_e32 v10, vcc, v10, v12
	v_addc_co_u32_e32 v12, vcc, 0, v14, vcc
	v_mul_lo_u32 v8, v7, v8
	v_add_co_u32_e32 v10, vcc, v10, v11
	v_addc_co_u32_e32 v10, vcc, v12, v13, vcc
	v_addc_co_u32_e32 v11, vcc, 0, v15, vcc
	v_add_co_u32_e32 v8, vcc, v10, v8
	v_addc_co_u32_e32 v10, vcc, 0, v11, vcc
	v_add_co_u32_e32 v4, vcc, v4, v8
	v_addc_co_u32_e32 v7, vcc, v7, v10, vcc
	v_mul_lo_u32 v8, s0, v7
	v_mul_hi_u32 v10, s0, v4
	v_mul_lo_u32 v11, s1, v4
	v_mul_lo_u32 v12, s0, v4
	v_add_u32_e32 v8, v10, v8
	v_add_u32_e32 v8, v8, v11
	v_mul_lo_u32 v13, v4, v8
	v_mul_hi_u32 v14, v4, v12
	v_mul_hi_u32 v15, v4, v8
	;; [unrolled: 1-line block ×3, first 2 shown]
	v_mul_lo_u32 v12, v7, v12
	v_mul_hi_u32 v10, v7, v8
	v_add_co_u32_e32 v13, vcc, v14, v13
	v_addc_co_u32_e32 v14, vcc, 0, v15, vcc
	v_mul_lo_u32 v8, v7, v8
	v_add_co_u32_e32 v12, vcc, v13, v12
	v_addc_co_u32_e32 v11, vcc, v14, v11, vcc
	v_addc_co_u32_e32 v10, vcc, 0, v10, vcc
	v_add_co_u32_e32 v8, vcc, v11, v8
	v_addc_co_u32_e32 v10, vcc, 0, v10, vcc
	v_add_co_u32_e32 v4, vcc, v4, v8
	v_addc_co_u32_e32 v10, vcc, v7, v10, vcc
	v_mad_u64_u32 v[7:8], s[0:1], v5, v10, 0
	v_mul_hi_u32 v11, v5, v4
	v_add_co_u32_e32 v12, vcc, v11, v7
	v_addc_co_u32_e32 v13, vcc, 0, v8, vcc
	v_mad_u64_u32 v[7:8], s[0:1], v6, v4, 0
	v_mad_u64_u32 v[10:11], s[0:1], v6, v10, 0
	v_add_co_u32_e32 v4, vcc, v12, v7
	v_addc_co_u32_e32 v4, vcc, v13, v8, vcc
	v_addc_co_u32_e32 v7, vcc, 0, v11, vcc
	v_add_co_u32_e32 v4, vcc, v4, v10
	v_addc_co_u32_e32 v10, vcc, 0, v7, vcc
	v_mul_lo_u32 v11, s19, v4
	v_mul_lo_u32 v12, s18, v10
	v_mad_u64_u32 v[7:8], s[0:1], s18, v4, 0
	v_add3_u32 v8, v8, v12, v11
	v_sub_u32_e32 v11, v6, v8
	v_mov_b32_e32 v12, s19
	v_sub_co_u32_e32 v7, vcc, v5, v7
	v_subb_co_u32_e64 v11, s[0:1], v11, v12, vcc
	v_subrev_co_u32_e64 v12, s[0:1], s18, v7
	v_subbrev_co_u32_e64 v11, s[0:1], 0, v11, s[0:1]
	v_cmp_le_u32_e64 s[0:1], s19, v11
	v_cndmask_b32_e64 v13, 0, -1, s[0:1]
	v_cmp_le_u32_e64 s[0:1], s18, v12
	v_cndmask_b32_e64 v12, 0, -1, s[0:1]
	v_cmp_eq_u32_e64 s[0:1], s19, v11
	v_cndmask_b32_e64 v11, v13, v12, s[0:1]
	v_add_co_u32_e64 v12, s[0:1], 2, v4
	v_addc_co_u32_e64 v13, s[0:1], 0, v10, s[0:1]
	v_add_co_u32_e64 v14, s[0:1], 1, v4
	v_addc_co_u32_e64 v15, s[0:1], 0, v10, s[0:1]
	v_subb_co_u32_e32 v8, vcc, v6, v8, vcc
	v_cmp_ne_u32_e64 s[0:1], 0, v11
	v_cmp_le_u32_e32 vcc, s19, v8
	v_cndmask_b32_e64 v11, v15, v13, s[0:1]
	v_cndmask_b32_e64 v13, 0, -1, vcc
	v_cmp_le_u32_e32 vcc, s18, v7
	v_cndmask_b32_e64 v7, 0, -1, vcc
	v_cmp_eq_u32_e32 vcc, s19, v8
	v_cndmask_b32_e32 v7, v13, v7, vcc
	v_cmp_ne_u32_e32 vcc, 0, v7
	v_cndmask_b32_e64 v7, v14, v12, s[0:1]
	v_cndmask_b32_e32 v8, v10, v11, vcc
	v_cndmask_b32_e32 v7, v4, v7, vcc
.LBB0_4:                                ;   in Loop: Header=BB0_2 Depth=1
	s_andn2_saveexec_b64 s[0:1], s[20:21]
	s_cbranch_execz .LBB0_6
; %bb.5:                                ;   in Loop: Header=BB0_2 Depth=1
	v_cvt_f32_u32_e32 v4, s18
	s_sub_i32 s20, 0, s18
	v_rcp_iflag_f32_e32 v4, v4
	v_mul_f32_e32 v4, 0x4f7ffffe, v4
	v_cvt_u32_f32_e32 v4, v4
	v_mul_lo_u32 v7, s20, v4
	v_mul_hi_u32 v7, v4, v7
	v_add_u32_e32 v4, v4, v7
	v_mul_hi_u32 v4, v5, v4
	v_mul_lo_u32 v7, v4, s18
	v_add_u32_e32 v8, 1, v4
	v_sub_u32_e32 v7, v5, v7
	v_subrev_u32_e32 v10, s18, v7
	v_cmp_le_u32_e32 vcc, s18, v7
	v_cndmask_b32_e32 v7, v7, v10, vcc
	v_cndmask_b32_e32 v4, v4, v8, vcc
	v_add_u32_e32 v8, 1, v4
	v_cmp_le_u32_e32 vcc, s18, v7
	v_cndmask_b32_e32 v7, v4, v8, vcc
	v_mov_b32_e32 v8, v3
.LBB0_6:                                ;   in Loop: Header=BB0_2 Depth=1
	s_or_b64 exec, exec, s[0:1]
	v_mul_lo_u32 v4, v8, s18
	v_mul_lo_u32 v12, v7, s19
	v_mad_u64_u32 v[10:11], s[0:1], v7, s18, 0
	s_load_dwordx2 s[0:1], s[6:7], 0x0
	s_add_u32 s16, s16, 1
	v_add3_u32 v4, v11, v12, v4
	v_sub_co_u32_e32 v5, vcc, v5, v10
	v_subb_co_u32_e32 v4, vcc, v6, v4, vcc
	s_waitcnt lgkmcnt(0)
	v_mul_lo_u32 v4, s0, v4
	v_mul_lo_u32 v6, s1, v5
	v_mad_u64_u32 v[1:2], s[0:1], s0, v5, v[1:2]
	s_addc_u32 s17, s17, 0
	s_add_u32 s6, s6, 8
	v_add3_u32 v2, v6, v2, v4
	v_mov_b32_e32 v4, s10
	v_mov_b32_e32 v5, s11
	s_addc_u32 s7, s7, 0
	v_cmp_ge_u64_e32 vcc, s[16:17], v[4:5]
	s_add_u32 s14, s14, 8
	s_addc_u32 s15, s15, 0
	s_cbranch_vccnz .LBB0_9
; %bb.7:                                ;   in Loop: Header=BB0_2 Depth=1
	v_mov_b32_e32 v5, v7
	v_mov_b32_e32 v6, v8
	s_branch .LBB0_2
.LBB0_8:
	v_mov_b32_e32 v8, v6
	v_mov_b32_e32 v7, v5
.LBB0_9:
	s_lshl_b64 s[0:1], s[10:11], 3
	s_add_u32 s0, s12, s0
	s_addc_u32 s1, s13, s1
	s_load_dwordx2 s[6:7], s[0:1], 0x0
	s_load_dwordx2 s[10:11], s[4:5], 0x20
	v_and_b32_e32 v5, 1, v9
	v_mov_b32_e32 v6, 0x3c9
	v_cmp_eq_u32_e32 vcc, 1, v5
	s_waitcnt lgkmcnt(0)
	v_mul_lo_u32 v3, s6, v8
	v_mul_lo_u32 v4, s7, v7
	v_mad_u64_u32 v[1:2], s[0:1], s6, v7, v[1:2]
	s_mov_b32 s0, 0x2e8ba2f
	v_cndmask_b32_e32 v12, 0, v6, vcc
	v_add3_u32 v2, v4, v2, v3
	v_mul_hi_u32 v3, v0, s0
	v_cmp_gt_u64_e64 s[0:1], s[10:11], v[7:8]
	v_lshlrev_b64 v[54:55], 4, v[1:2]
	v_lshlrev_b32_e32 v58, 4, v12
	v_mul_u32_u24_e32 v3, 0x58, v3
	v_sub_u32_e32 v52, v0, v3
	s_and_saveexec_b64 s[4:5], s[0:1]
	s_cbranch_execz .LBB0_13
; %bb.10:
	v_mov_b32_e32 v53, 0
	v_mov_b32_e32 v0, s3
	v_add_co_u32_e32 v1, vcc, s2, v54
	v_lshlrev_b64 v[2:3], 4, v[52:53]
	v_addc_co_u32_e32 v0, vcc, v0, v55, vcc
	v_add_co_u32_e32 v21, vcc, v1, v2
	v_addc_co_u32_e32 v22, vcc, v0, v3, vcc
	s_movk_i32 s6, 0x1000
	v_add_co_u32_e32 v49, vcc, s6, v21
	v_addc_co_u32_e32 v50, vcc, 0, v22, vcc
	s_movk_i32 s6, 0x2000
	v_add_co_u32_e32 v56, vcc, s6, v21
	v_addc_co_u32_e32 v57, vcc, 0, v22, vcc
	v_add_co_u32_e32 v59, vcc, 0x3000, v21
	global_load_dwordx4 v[3:6], v[21:22], off
	global_load_dwordx4 v[7:10], v[21:22], off offset:1408
	global_load_dwordx4 v[13:16], v[21:22], off offset:2816
	;; [unrolled: 1-line block ×3, first 2 shown]
	v_addc_co_u32_e32 v60, vcc, 0, v22, vcc
	global_load_dwordx4 v[21:24], v[49:50], off offset:1536
	global_load_dwordx4 v[25:28], v[49:50], off offset:2944
	;; [unrolled: 1-line block ×7, first 2 shown]
	v_lshlrev_b32_e32 v2, 4, v52
	s_movk_i32 s6, 0x57
	v_add3_u32 v2, 0, v58, v2
	v_cmp_eq_u32_e32 vcc, s6, v52
	s_waitcnt vmcnt(10)
	ds_write_b128 v2, v[3:6]
	s_waitcnt vmcnt(9)
	ds_write_b128 v2, v[7:10] offset:1408
	s_waitcnt vmcnt(8)
	ds_write_b128 v2, v[13:16] offset:2816
	;; [unrolled: 2-line block ×10, first 2 shown]
	s_and_saveexec_b64 s[6:7], vcc
	s_cbranch_execz .LBB0_12
; %bb.11:
	v_add_co_u32_e32 v3, vcc, 0x3000, v1
	v_addc_co_u32_e32 v4, vcc, 0, v0, vcc
	global_load_dwordx4 v[3:6], v[3:4], off offset:3200
	v_mov_b32_e32 v52, 0x57
	s_waitcnt vmcnt(0)
	ds_write_b128 v2, v[3:6] offset:14096
.LBB0_12:
	s_or_b64 exec, exec, s[6:7]
.LBB0_13:
	s_or_b64 exec, exec, s[4:5]
	v_lshl_add_u32 v56, v12, 4, 0
	v_lshlrev_b32_e32 v13, 4, v52
	v_add_u32_e32 v57, v56, v13
	s_waitcnt lgkmcnt(0)
	s_barrier
	v_sub_u32_e32 v10, v56, v13
	ds_read_b64 v[6:7], v57
	ds_read_b64 v[8:9], v10 offset:15488
	s_add_u32 s6, s8, 0x3c60
	s_addc_u32 s7, s9, 0
	v_cmp_ne_u32_e32 vcc, 0, v52
                                        ; implicit-def: $vgpr4_vgpr5
	s_waitcnt lgkmcnt(0)
	v_add_f64 v[0:1], v[6:7], v[8:9]
	v_add_f64 v[2:3], v[6:7], -v[8:9]
	s_and_saveexec_b64 s[4:5], vcc
	s_xor_b64 s[4:5], exec, s[4:5]
	s_cbranch_execz .LBB0_15
; %bb.14:
	v_mov_b32_e32 v53, 0
	v_lshlrev_b64 v[0:1], 4, v[52:53]
	v_mov_b32_e32 v2, s7
	v_add_co_u32_e32 v0, vcc, s6, v0
	v_addc_co_u32_e32 v1, vcc, v2, v1, vcc
	global_load_dwordx4 v[2:5], v[0:1], off
	ds_read_b64 v[0:1], v10 offset:15496
	ds_read_b64 v[14:15], v57 offset:8
	v_add_f64 v[16:17], v[6:7], v[8:9]
	v_add_f64 v[8:9], v[6:7], -v[8:9]
	s_waitcnt lgkmcnt(0)
	v_add_f64 v[18:19], v[0:1], v[14:15]
	v_add_f64 v[0:1], v[14:15], -v[0:1]
	s_waitcnt vmcnt(0)
	v_fma_f64 v[6:7], -v[8:9], v[4:5], v[16:17]
	v_fma_f64 v[14:15], v[18:19], v[4:5], -v[0:1]
	v_fma_f64 v[16:17], v[8:9], v[4:5], v[16:17]
	v_fma_f64 v[20:21], v[18:19], v[4:5], v[0:1]
	;; [unrolled: 1-line block ×4, first 2 shown]
	v_fma_f64 v[0:1], -v[18:19], v[2:3], v[16:17]
	v_fma_f64 v[2:3], v[8:9], v[2:3], v[20:21]
	ds_write_b128 v10, v[4:7] offset:15488
	v_mov_b32_e32 v4, v52
	v_mov_b32_e32 v5, v53
.LBB0_15:
	s_andn2_saveexec_b64 s[4:5], s[4:5]
	s_cbranch_execz .LBB0_17
; %bb.16:
	ds_read_b128 v[4:7], v56 offset:7744
	s_waitcnt lgkmcnt(0)
	v_add_f64 v[14:15], v[4:5], v[4:5]
	v_mul_f64 v[16:17], v[6:7], -2.0
	v_mov_b32_e32 v4, 0
	v_mov_b32_e32 v5, 0
	ds_write_b128 v56, v[14:17] offset:7744
.LBB0_17:
	s_or_b64 exec, exec, s[4:5]
	v_lshlrev_b64 v[4:5], 4, v[4:5]
	v_mov_b32_e32 v6, s7
	v_add_co_u32_e32 v8, vcc, s6, v4
	v_addc_co_u32_e32 v9, vcc, v6, v5, vcc
	global_load_dwordx4 v[4:7], v[8:9], off offset:1408
	global_load_dwordx4 v[14:17], v[8:9], off offset:2816
	s_movk_i32 s4, 0x1000
	ds_write_b128 v57, v[0:3]
	v_add_co_u32_e32 v0, vcc, s4, v8
	v_addc_co_u32_e32 v1, vcc, 0, v9, vcc
	ds_read_b128 v[18:21], v57 offset:1408
	ds_read_b128 v[22:25], v10 offset:14080
	global_load_dwordx4 v[26:29], v[0:1], off offset:128
	v_cmp_gt_u32_e32 vcc, 44, v52
	s_waitcnt lgkmcnt(0)
	v_add_f64 v[2:3], v[18:19], v[22:23]
	v_add_f64 v[30:31], v[24:25], v[20:21]
	v_add_f64 v[18:19], v[18:19], -v[22:23]
	v_add_f64 v[8:9], v[20:21], -v[24:25]
	s_waitcnt vmcnt(2)
	v_fma_f64 v[20:21], v[18:19], v[6:7], v[2:3]
	v_fma_f64 v[22:23], v[30:31], v[6:7], v[8:9]
	v_fma_f64 v[2:3], -v[18:19], v[6:7], v[2:3]
	v_fma_f64 v[24:25], v[30:31], v[6:7], -v[8:9]
	v_fma_f64 v[6:7], -v[30:31], v[4:5], v[20:21]
	v_fma_f64 v[8:9], v[18:19], v[4:5], v[22:23]
	v_fma_f64 v[2:3], v[30:31], v[4:5], v[2:3]
	;; [unrolled: 1-line block ×3, first 2 shown]
	ds_write_b128 v57, v[6:9] offset:1408
	ds_write_b128 v10, v[2:5] offset:14080
	ds_read_b128 v[2:5], v57 offset:2816
	ds_read_b128 v[6:9], v10 offset:12672
	global_load_dwordx4 v[18:21], v[0:1], off offset:1536
	s_waitcnt lgkmcnt(0)
	v_add_f64 v[22:23], v[2:3], v[6:7]
	v_add_f64 v[24:25], v[8:9], v[4:5]
	v_add_f64 v[30:31], v[2:3], -v[6:7]
	v_add_f64 v[2:3], v[4:5], -v[8:9]
	s_waitcnt vmcnt(2)
	v_fma_f64 v[4:5], v[30:31], v[16:17], v[22:23]
	v_fma_f64 v[6:7], v[24:25], v[16:17], v[2:3]
	v_fma_f64 v[8:9], -v[30:31], v[16:17], v[22:23]
	v_fma_f64 v[16:17], v[24:25], v[16:17], -v[2:3]
	v_fma_f64 v[2:3], -v[24:25], v[14:15], v[4:5]
	v_fma_f64 v[4:5], v[30:31], v[14:15], v[6:7]
	v_fma_f64 v[6:7], v[24:25], v[14:15], v[8:9]
	;; [unrolled: 1-line block ×3, first 2 shown]
	ds_write_b128 v57, v[2:5] offset:2816
	ds_write_b128 v10, v[6:9] offset:12672
	ds_read_b128 v[2:5], v57 offset:4224
	ds_read_b128 v[6:9], v10 offset:11264
	s_waitcnt lgkmcnt(0)
	v_add_f64 v[14:15], v[2:3], v[6:7]
	v_add_f64 v[16:17], v[8:9], v[4:5]
	v_add_f64 v[22:23], v[2:3], -v[6:7]
	v_add_f64 v[2:3], v[4:5], -v[8:9]
	s_waitcnt vmcnt(1)
	v_fma_f64 v[4:5], v[22:23], v[28:29], v[14:15]
	v_fma_f64 v[6:7], v[16:17], v[28:29], v[2:3]
	v_fma_f64 v[8:9], -v[22:23], v[28:29], v[14:15]
	v_fma_f64 v[14:15], v[16:17], v[28:29], -v[2:3]
	v_fma_f64 v[2:3], -v[16:17], v[26:27], v[4:5]
	v_fma_f64 v[4:5], v[22:23], v[26:27], v[6:7]
	v_fma_f64 v[6:7], v[16:17], v[26:27], v[8:9]
	;; [unrolled: 1-line block ×3, first 2 shown]
	ds_write_b128 v57, v[2:5] offset:4224
	ds_write_b128 v10, v[6:9] offset:11264
	ds_read_b128 v[2:5], v57 offset:5632
	ds_read_b128 v[6:9], v10 offset:9856
	s_waitcnt lgkmcnt(0)
	v_add_f64 v[14:15], v[2:3], v[6:7]
	v_add_f64 v[16:17], v[8:9], v[4:5]
	v_add_f64 v[22:23], v[2:3], -v[6:7]
	v_add_f64 v[2:3], v[4:5], -v[8:9]
	s_waitcnt vmcnt(0)
	v_fma_f64 v[4:5], v[22:23], v[20:21], v[14:15]
	v_fma_f64 v[6:7], v[16:17], v[20:21], v[2:3]
	v_fma_f64 v[8:9], -v[22:23], v[20:21], v[14:15]
	v_fma_f64 v[14:15], v[16:17], v[20:21], -v[2:3]
	v_fma_f64 v[2:3], -v[16:17], v[18:19], v[4:5]
	v_fma_f64 v[4:5], v[22:23], v[18:19], v[6:7]
	v_fma_f64 v[6:7], v[16:17], v[18:19], v[8:9]
	;; [unrolled: 1-line block ×3, first 2 shown]
	ds_write_b128 v57, v[2:5] offset:5632
	ds_write_b128 v10, v[6:9] offset:9856
	s_and_saveexec_b64 s[4:5], vcc
	s_cbranch_execz .LBB0_19
; %bb.18:
	global_load_dwordx4 v[0:3], v[0:1], off offset:2944
	ds_read_b128 v[4:7], v57 offset:7040
	ds_read_b128 v[14:17], v10 offset:8448
	s_waitcnt lgkmcnt(0)
	v_add_f64 v[8:9], v[4:5], v[14:15]
	v_add_f64 v[18:19], v[16:17], v[6:7]
	v_add_f64 v[14:15], v[4:5], -v[14:15]
	v_add_f64 v[4:5], v[6:7], -v[16:17]
	s_waitcnt vmcnt(0)
	v_fma_f64 v[6:7], v[14:15], v[2:3], v[8:9]
	v_fma_f64 v[16:17], v[18:19], v[2:3], v[4:5]
	v_fma_f64 v[8:9], -v[14:15], v[2:3], v[8:9]
	v_fma_f64 v[20:21], v[18:19], v[2:3], -v[4:5]
	v_fma_f64 v[2:3], -v[18:19], v[0:1], v[6:7]
	v_fma_f64 v[4:5], v[14:15], v[0:1], v[16:17]
	v_fma_f64 v[6:7], v[18:19], v[0:1], v[8:9]
	;; [unrolled: 1-line block ×3, first 2 shown]
	ds_write_b128 v57, v[2:5] offset:7040
	ds_write_b128 v10, v[6:9] offset:8448
.LBB0_19:
	s_or_b64 exec, exec, s[4:5]
	v_add_u32_e32 v46, 0, v13
	v_add_u32_e32 v53, v46, v58
	s_waitcnt lgkmcnt(0)
	s_barrier
	s_barrier
	ds_read_b128 v[0:3], v53 offset:7744
	ds_read_b128 v[4:7], v57
	ds_read_b128 v[8:11], v53 offset:1408
	ds_read_b128 v[14:17], v53 offset:9152
	;; [unrolled: 1-line block ×10, first 2 shown]
	s_waitcnt lgkmcnt(10)
	v_add_f64 v[0:1], v[4:5], -v[0:1]
	v_add_f64 v[2:3], v[6:7], -v[2:3]
	s_waitcnt lgkmcnt(8)
	v_add_f64 v[42:43], v[8:9], -v[14:15]
	v_add_f64 v[44:45], v[10:11], -v[16:17]
	;; [unrolled: 3-line block ×3, first 2 shown]
	v_add_u32_e32 v14, v46, v13
	v_add_u32_e32 v15, v14, v58
	v_fma_f64 v[4:5], v[4:5], 2.0, -v[0:1]
	v_fma_f64 v[6:7], v[6:7], 2.0, -v[2:3]
	;; [unrolled: 1-line block ×4, first 2 shown]
	v_add_u32_e32 v49, 0x58, v52
	s_waitcnt lgkmcnt(0)
	s_barrier
	ds_write_b128 v15, v[0:3] offset:16
	v_lshlrev_b32_e32 v0, 5, v49
	v_add_u32_e32 v50, 0xb0, v52
	ds_write_b128 v15, v[4:7]
	v_add3_u32 v0, 0, v0, v58
	v_lshlrev_b32_e32 v4, 5, v50
	ds_write_b128 v0, v[8:11]
	ds_write_b128 v0, v[42:45] offset:16
	v_fma_f64 v[0:1], v[18:19], 2.0, -v[26:27]
	v_fma_f64 v[2:3], v[20:21], 2.0, -v[28:29]
	v_add3_u32 v19, 0, v4, v58
	v_add_f64 v[8:9], v[22:23], -v[30:31]
	v_add_f64 v[10:11], v[24:25], -v[32:33]
	;; [unrolled: 1-line block ×6, first 2 shown]
	ds_write_b128 v19, v[0:3]
	ds_write_b128 v19, v[26:29] offset:16
	v_add_u32_e32 v51, 0x108, v52
	v_fma_f64 v[19:20], v[22:23], 2.0, -v[8:9]
	v_fma_f64 v[21:22], v[24:25], 2.0, -v[10:11]
	;; [unrolled: 1-line block ×6, first 2 shown]
	v_lshlrev_b32_e32 v27, 5, v51
	v_add3_u32 v27, 0, v27, v58
	v_add_u32_e32 v60, 0x160, v52
	ds_write_b128 v27, v[8:11] offset:16
	v_lshlrev_b32_e32 v8, 5, v60
	v_add_u32_e32 v48, 0x1b8, v52
	v_add3_u32 v8, 0, v8, v58
	ds_write_b128 v27, v[19:22]
	ds_write_b128 v8, v[23:26]
	ds_write_b128 v8, v[15:18] offset:16
	s_and_saveexec_b64 s[4:5], vcc
	s_cbranch_execz .LBB0_21
; %bb.20:
	v_lshlrev_b32_e32 v8, 5, v48
	v_add3_u32 v8, 0, v8, v58
	ds_write_b128 v8, v[0:3]
	ds_write_b128 v8, v[4:7] offset:16
.LBB0_21:
	s_or_b64 exec, exec, s[4:5]
	v_sub_u32_e32 v13, v14, v13
	v_lshl_add_u32 v59, v12, 4, v13
	s_waitcnt lgkmcnt(0)
	s_barrier
	ds_read_b128 v[8:11], v57
	ds_read_b128 v[28:31], v53 offset:7744
	ds_read_b128 v[12:15], v59 offset:1408
	;; [unrolled: 1-line block ×9, first 2 shown]
	v_lshlrev_b32_e32 v63, 1, v49
	v_lshlrev_b32_e32 v62, 1, v50
	;; [unrolled: 1-line block ×4, first 2 shown]
	s_and_saveexec_b64 s[4:5], vcc
	s_cbranch_execz .LBB0_23
; %bb.22:
	ds_read_b128 v[0:3], v59 offset:7040
	ds_read_b128 v[4:7], v53 offset:14784
.LBB0_23:
	s_or_b64 exec, exec, s[4:5]
	v_and_b32_e32 v49, 1, v52
	v_lshlrev_b32_e32 v50, 4, v49
	global_load_dwordx4 v[66:69], v50, s[8:9]
	v_lshlrev_b32_e32 v65, 1, v52
	s_movk_i32 s4, 0xfc
	s_movk_i32 s5, 0x1fc
	;; [unrolled: 1-line block ×3, first 2 shown]
	v_and_or_b32 v50, v65, s4, v49
	v_and_or_b32 v51, v63, s5, v49
	;; [unrolled: 1-line block ×4, first 2 shown]
	v_lshlrev_b32_e32 v50, 4, v50
	v_lshlrev_b32_e32 v51, 4, v51
	;; [unrolled: 1-line block ×4, first 2 shown]
	v_add3_u32 v90, 0, v50, v58
	v_add3_u32 v91, 0, v51, v58
	;; [unrolled: 1-line block ×4, first 2 shown]
	v_and_or_b32 v64, v62, s6, v49
	v_lshlrev_b32_e32 v64, 4, v64
	v_add3_u32 v64, 0, v64, v58
	s_waitcnt vmcnt(0) lgkmcnt(0)
	s_barrier
	v_mul_f64 v[50:51], v[30:31], v[68:69]
	v_mul_f64 v[70:71], v[28:29], v[68:69]
	v_mul_f64 v[72:73], v[38:39], v[68:69]
	v_mul_f64 v[74:75], v[36:37], v[68:69]
	v_mul_f64 v[76:77], v[34:35], v[68:69]
	v_mul_f64 v[78:79], v[32:33], v[68:69]
	v_mul_f64 v[80:81], v[46:47], v[68:69]
	v_mul_f64 v[82:83], v[44:45], v[68:69]
	v_mul_f64 v[84:85], v[42:43], v[68:69]
	v_mul_f64 v[86:87], v[40:41], v[68:69]
	v_mul_f64 v[88:89], v[6:7], v[68:69]
	v_mul_f64 v[68:69], v[4:5], v[68:69]
	v_fma_f64 v[28:29], v[28:29], v[66:67], v[50:51]
	v_fma_f64 v[30:31], v[30:31], v[66:67], -v[70:71]
	v_fma_f64 v[36:37], v[36:37], v[66:67], v[72:73]
	v_fma_f64 v[38:39], v[38:39], v[66:67], -v[74:75]
	;; [unrolled: 2-line block ×6, first 2 shown]
	v_add_f64 v[28:29], v[8:9], -v[28:29]
	v_add_f64 v[30:31], v[10:11], -v[30:31]
	;; [unrolled: 1-line block ×12, first 2 shown]
	v_fma_f64 v[8:9], v[8:9], 2.0, -v[28:29]
	v_fma_f64 v[10:11], v[10:11], 2.0, -v[30:31]
	;; [unrolled: 1-line block ×12, first 2 shown]
	ds_write_b128 v90, v[28:31] offset:32
	ds_write_b128 v90, v[8:11]
	ds_write_b128 v91, v[12:15]
	ds_write_b128 v91, v[32:35] offset:32
	ds_write_b128 v64, v[16:19]
	ds_write_b128 v64, v[36:39] offset:32
	;; [unrolled: 2-line block ×4, first 2 shown]
	v_lshlrev_b32_e32 v64, 1, v48
	s_and_saveexec_b64 s[4:5], vcc
	s_cbranch_execz .LBB0_25
; %bb.24:
	v_and_or_b32 v8, v64, s6, v49
	v_lshlrev_b32_e32 v8, 4, v8
	v_add3_u32 v8, 0, v8, v58
	ds_write_b128 v8, v[0:3]
	ds_write_b128 v8, v[4:7] offset:32
.LBB0_25:
	s_or_b64 exec, exec, s[4:5]
	s_waitcnt lgkmcnt(0)
	s_barrier
	ds_read_b128 v[28:31], v57
	ds_read_b128 v[44:47], v53 offset:7744
	ds_read_b128 v[24:27], v59 offset:1408
	;; [unrolled: 1-line block ×9, first 2 shown]
	s_and_saveexec_b64 s[4:5], vcc
	s_cbranch_execz .LBB0_27
; %bb.26:
	ds_read_b128 v[0:3], v53 offset:7040
	ds_read_b128 v[4:7], v53 offset:14784
.LBB0_27:
	s_or_b64 exec, exec, s[4:5]
	v_and_b32_e32 v66, 3, v52
	v_lshlrev_b32_e32 v8, 4, v66
	global_load_dwordx4 v[8:11], v8, s[8:9] offset:32
	s_movk_i32 s4, 0xf8
	v_and_or_b32 v65, v65, s4, v66
	v_lshlrev_b32_e32 v65, 4, v65
	v_add3_u32 v65, 0, v65, v58
	s_movk_i32 s4, 0x1f8
	s_waitcnt vmcnt(0) lgkmcnt(0)
	s_barrier
	s_movk_i32 s6, 0x3f8
	v_mul_f64 v[67:68], v[46:47], v[10:11]
	v_fma_f64 v[67:68], v[44:45], v[8:9], v[67:68]
	v_mul_f64 v[44:45], v[44:45], v[10:11]
	v_fma_f64 v[44:45], v[46:47], v[8:9], -v[44:45]
	v_mul_f64 v[46:47], v[50:51], v[10:11]
	v_fma_f64 v[46:47], v[48:49], v[8:9], v[46:47]
	v_mul_f64 v[48:49], v[48:49], v[10:11]
	v_fma_f64 v[48:49], v[50:51], v[8:9], -v[48:49]
	v_mul_f64 v[50:51], v[38:39], v[10:11]
	v_fma_f64 v[50:51], v[36:37], v[8:9], v[50:51]
	v_mul_f64 v[36:37], v[36:37], v[10:11]
	v_fma_f64 v[69:70], v[38:39], v[8:9], -v[36:37]
	v_mul_f64 v[36:37], v[42:43], v[10:11]
	v_add_f64 v[38:39], v[26:27], -v[48:49]
	v_fma_f64 v[71:72], v[40:41], v[8:9], v[36:37]
	v_mul_f64 v[36:37], v[40:41], v[10:11]
	v_add_f64 v[40:41], v[20:21], -v[50:51]
	v_fma_f64 v[26:27], v[26:27], 2.0, -v[38:39]
	v_fma_f64 v[73:74], v[42:43], v[8:9], -v[36:37]
	v_mul_f64 v[36:37], v[34:35], v[10:11]
	v_add_f64 v[42:43], v[22:23], -v[69:70]
	v_fma_f64 v[20:21], v[20:21], 2.0, -v[40:41]
	v_fma_f64 v[75:76], v[32:33], v[8:9], v[36:37]
	v_mul_f64 v[32:33], v[32:33], v[10:11]
	v_add_f64 v[36:37], v[24:25], -v[46:47]
	v_add_f64 v[46:47], v[18:19], -v[73:74]
	v_fma_f64 v[22:23], v[22:23], 2.0, -v[42:43]
	v_add_f64 v[48:49], v[12:13], -v[75:76]
	v_fma_f64 v[77:78], v[34:35], v[8:9], -v[32:33]
	v_add_f64 v[32:33], v[28:29], -v[67:68]
	v_add_f64 v[34:35], v[30:31], -v[44:45]
	;; [unrolled: 1-line block ×3, first 2 shown]
	v_fma_f64 v[24:25], v[24:25], 2.0, -v[36:37]
	v_fma_f64 v[18:19], v[18:19], 2.0, -v[46:47]
	;; [unrolled: 1-line block ×3, first 2 shown]
	v_add_f64 v[50:51], v[14:15], -v[77:78]
	v_fma_f64 v[28:29], v[28:29], 2.0, -v[32:33]
	v_fma_f64 v[30:31], v[30:31], 2.0, -v[34:35]
	ds_write_b128 v65, v[28:31]
	ds_write_b128 v65, v[32:35] offset:64
	v_and_or_b32 v28, v63, s4, v66
	v_fma_f64 v[16:17], v[16:17], 2.0, -v[44:45]
	v_lshlrev_b32_e32 v28, 4, v28
	v_add3_u32 v28, 0, v28, v58
	ds_write_b128 v28, v[24:27]
	ds_write_b128 v28, v[36:39] offset:64
	v_and_or_b32 v24, v62, s6, v66
	v_fma_f64 v[14:15], v[14:15], 2.0, -v[50:51]
	v_lshlrev_b32_e32 v24, 4, v24
	v_add3_u32 v24, 0, v24, v58
	ds_write_b128 v24, v[20:23]
	ds_write_b128 v24, v[40:43] offset:64
	v_and_or_b32 v20, v61, s6, v66
	v_lshlrev_b32_e32 v20, 4, v20
	v_add3_u32 v20, 0, v20, v58
	ds_write_b128 v20, v[16:19]
	ds_write_b128 v20, v[44:47] offset:64
	v_and_or_b32 v16, v60, s6, v66
	v_lshlrev_b32_e32 v16, 4, v16
	v_add3_u32 v16, 0, v16, v58
	ds_write_b128 v16, v[12:15]
	ds_write_b128 v16, v[48:51] offset:64
	s_and_saveexec_b64 s[4:5], vcc
	s_cbranch_execz .LBB0_29
; %bb.28:
	v_mul_f64 v[12:13], v[4:5], v[10:11]
	v_mul_f64 v[10:11], v[6:7], v[10:11]
	v_fma_f64 v[6:7], v[6:7], v[8:9], -v[12:13]
	v_fma_f64 v[4:5], v[4:5], v[8:9], v[10:11]
	v_and_or_b32 v8, v64, s6, v66
	v_lshlrev_b32_e32 v8, 4, v8
	v_add3_u32 v8, 0, v8, v58
	v_add_f64 v[6:7], v[2:3], -v[6:7]
	v_add_f64 v[4:5], v[0:1], -v[4:5]
	v_fma_f64 v[2:3], v[2:3], 2.0, -v[6:7]
	v_fma_f64 v[0:1], v[0:1], 2.0, -v[4:5]
	ds_write_b128 v8, v[0:3]
	ds_write_b128 v8, v[4:7] offset:64
.LBB0_29:
	s_or_b64 exec, exec, s[4:5]
	v_and_b32_e32 v0, 7, v52
	v_mul_u32_u24_e32 v1, 10, v0
	v_lshlrev_b32_e32 v41, 4, v1
	s_waitcnt lgkmcnt(0)
	s_barrier
	global_load_dwordx4 v[1:4], v41, s[8:9] offset:96
	global_load_dwordx4 v[5:8], v41, s[8:9] offset:112
	;; [unrolled: 1-line block ×10, first 2 shown]
	ds_read_b128 v[41:44], v59 offset:2816
	ds_read_b128 v[45:48], v59 offset:4224
	;; [unrolled: 1-line block ×10, first 2 shown]
	ds_read_b128 v[92:95], v57
	s_mov_b32 s20, 0xf8bb580b
	s_mov_b32 s10, 0x8eee2c13
	;; [unrolled: 1-line block ×30, first 2 shown]
	s_waitcnt vmcnt(0) lgkmcnt(0)
	s_barrier
	v_mul_f64 v[49:50], v[66:67], v[3:4]
	v_mul_f64 v[3:4], v[64:65], v[3:4]
	;; [unrolled: 1-line block ×16, first 2 shown]
	v_fma_f64 v[49:50], v[64:65], v[1:2], v[49:50]
	v_fma_f64 v[1:2], v[66:67], v[1:2], -v[3:4]
	v_mul_f64 v[3:4], v[82:83], v[35:36]
	v_mul_f64 v[35:36], v[80:81], v[35:36]
	;; [unrolled: 1-line block ×4, first 2 shown]
	v_fma_f64 v[41:42], v[41:42], v[5:6], v[96:97]
	v_fma_f64 v[5:6], v[43:44], v[5:6], -v[7:8]
	v_fma_f64 v[7:8], v[45:46], v[9:10], v[98:99]
	v_fma_f64 v[9:10], v[47:48], v[9:10], -v[11:12]
	v_fma_f64 v[11:12], v[60:61], v[13:14], v[100:101]
	v_fma_f64 v[13:14], v[62:63], v[13:14], -v[15:16]
	v_fma_f64 v[15:16], v[88:89], v[17:18], v[102:103]
	v_fma_f64 v[17:18], v[90:91], v[17:18], -v[19:20]
	v_fma_f64 v[19:20], v[70:71], v[25:26], -v[106:107]
	v_fma_f64 v[43:44], v[72:73], v[21:22], v[104:105]
	v_fma_f64 v[21:22], v[74:75], v[21:22], -v[23:24]
	v_fma_f64 v[23:24], v[68:69], v[25:26], v[27:28]
	v_fma_f64 v[25:26], v[76:77], v[29:30], v[108:109]
	v_fma_f64 v[27:28], v[78:79], v[29:30], -v[31:32]
	v_fma_f64 v[29:30], v[80:81], v[33:34], v[3:4]
	v_fma_f64 v[31:32], v[82:83], v[33:34], -v[35:36]
	v_add_f64 v[3:4], v[1:2], -v[19:20]
	v_fma_f64 v[35:36], v[86:87], v[37:38], -v[39:40]
	v_add_f64 v[39:40], v[1:2], v[19:20]
	v_add_f64 v[47:48], v[92:93], v[49:50]
	;; [unrolled: 1-line block ×3, first 2 shown]
	v_fma_f64 v[33:34], v[84:85], v[37:38], v[64:65]
	v_add_f64 v[37:38], v[49:50], v[23:24]
	v_add_f64 v[45:46], v[49:50], -v[23:24]
	v_mul_f64 v[49:50], v[3:4], s[20:21]
	v_mul_f64 v[60:61], v[3:4], s[10:11]
	v_mul_f64 v[68:69], v[39:40], s[12:13]
	v_add_f64 v[47:48], v[47:48], v[41:42]
	v_add_f64 v[1:2], v[1:2], v[5:6]
	v_mul_f64 v[80:81], v[39:40], s[6:7]
	v_mul_f64 v[62:63], v[3:4], s[4:5]
	;; [unrolled: 1-line block ×5, first 2 shown]
	v_fma_f64 v[70:71], v[37:38], s[16:17], v[49:50]
	v_add_f64 v[47:48], v[47:48], v[7:8]
	v_add_f64 v[1:2], v[1:2], v[9:10]
	v_fma_f64 v[72:73], v[37:38], s[12:13], v[60:61]
	v_fma_f64 v[82:83], v[45:46], s[24:25], v[68:69]
	v_mul_f64 v[84:85], v[39:40], s[18:19]
	v_mul_f64 v[39:40], v[39:40], s[28:29]
	v_fma_f64 v[86:87], v[45:46], s[22:23], v[80:81]
	v_fma_f64 v[49:50], v[37:38], s[16:17], -v[49:50]
	v_add_f64 v[47:48], v[47:48], v[11:12]
	v_add_f64 v[1:2], v[1:2], v[13:14]
	v_fma_f64 v[60:61], v[37:38], s[12:13], -v[60:61]
	v_fma_f64 v[74:75], v[37:38], s[6:7], v[62:63]
	v_fma_f64 v[62:63], v[37:38], s[6:7], -v[62:63]
	v_fma_f64 v[76:77], v[37:38], s[18:19], v[64:65]
	;; [unrolled: 2-line block ×3, first 2 shown]
	v_add_f64 v[47:48], v[47:48], v[15:16]
	v_add_f64 v[1:2], v[1:2], v[17:18]
	v_fma_f64 v[3:4], v[37:38], s[28:29], -v[3:4]
	v_fma_f64 v[37:38], v[45:46], s[30:31], v[66:67]
	v_fma_f64 v[66:67], v[45:46], s[20:21], v[66:67]
	;; [unrolled: 1-line block ×5, first 2 shown]
	v_add_f64 v[47:48], v[47:48], v[43:44]
	v_add_f64 v[1:2], v[1:2], v[21:22]
	v_fma_f64 v[84:85], v[45:46], s[14:15], v[84:85]
	v_fma_f64 v[90:91], v[45:46], s[36:37], v[39:40]
	;; [unrolled: 1-line block ×3, first 2 shown]
	v_add_f64 v[45:46], v[92:93], v[70:71]
	v_add_f64 v[70:71], v[92:93], v[72:73]
	;; [unrolled: 1-line block ×6, first 2 shown]
	v_add_f64 v[86:87], v[5:6], -v[35:36]
	v_add_f64 v[96:97], v[41:42], v[33:34]
	v_add_f64 v[5:6], v[5:6], v[35:36]
	v_add_f64 v[41:42], v[41:42], -v[33:34]
	v_add_f64 v[37:38], v[94:95], v[37:38]
	v_add_f64 v[49:50], v[92:93], v[49:50]
	;; [unrolled: 1-line block ×4, first 2 shown]
	v_mul_f64 v[98:99], v[86:87], s[10:11]
	v_add_f64 v[66:67], v[94:95], v[66:67]
	v_add_f64 v[60:61], v[92:93], v[60:61]
	;; [unrolled: 1-line block ×8, first 2 shown]
	v_fma_f64 v[90:91], v[96:97], s[12:13], v[98:99]
	v_add_f64 v[80:81], v[94:95], v[80:81]
	v_add_f64 v[76:77], v[92:93], v[76:77]
	;; [unrolled: 1-line block ×6, first 2 shown]
	v_mul_f64 v[100:101], v[5:6], s[12:13]
	v_add_f64 v[92:93], v[92:93], v[3:4]
	v_add_f64 v[39:40], v[94:95], v[39:40]
	v_mul_f64 v[94:95], v[86:87], s[14:15]
	v_add_f64 v[1:2], v[33:34], v[23:24]
	v_mul_f64 v[23:24], v[5:6], s[18:19]
	v_add_f64 v[3:4], v[35:36], v[19:20]
	v_add_f64 v[19:20], v[90:91], v[45:46]
	v_fma_f64 v[33:34], v[96:97], s[12:13], -v[98:99]
	v_mul_f64 v[90:91], v[86:87], s[36:37]
	v_fma_f64 v[102:103], v[41:42], s[24:25], v[100:101]
	v_fma_f64 v[35:36], v[41:42], s[10:11], v[100:101]
	;; [unrolled: 1-line block ×4, first 2 shown]
	v_fma_f64 v[94:95], v[96:97], s[18:19], -v[94:95]
	v_mul_f64 v[100:101], v[5:6], s[28:29]
	v_add_f64 v[33:34], v[33:34], v[49:50]
	v_fma_f64 v[49:50], v[96:97], s[28:29], v[90:91]
	v_fma_f64 v[23:24], v[41:42], s[14:15], v[23:24]
	v_add_f64 v[35:36], v[35:36], v[66:67]
	v_add_f64 v[45:46], v[45:46], v[70:71]
	v_add_f64 v[66:67], v[98:99], v[72:73]
	v_add_f64 v[60:61], v[94:95], v[60:61]
	v_fma_f64 v[70:71], v[41:42], s[26:27], v[100:101]
	v_fma_f64 v[72:73], v[96:97], s[28:29], -v[90:91]
	v_fma_f64 v[90:91], v[41:42], s[36:37], v[100:101]
	v_mul_f64 v[94:95], v[86:87], s[22:23]
	v_add_f64 v[49:50], v[49:50], v[74:75]
	v_mul_f64 v[74:75], v[5:6], s[6:7]
	v_mul_f64 v[5:6], v[5:6], s[16:17]
	v_add_f64 v[23:24], v[23:24], v[68:69]
	v_mul_f64 v[68:69], v[86:87], s[30:31]
	v_add_f64 v[70:71], v[70:71], v[82:83]
	v_add_f64 v[62:63], v[72:73], v[62:63]
	;; [unrolled: 1-line block ×3, first 2 shown]
	v_fma_f64 v[80:81], v[96:97], s[6:7], v[94:95]
	v_fma_f64 v[82:83], v[96:97], s[6:7], -v[94:95]
	v_fma_f64 v[90:91], v[41:42], s[4:5], v[74:75]
	v_add_f64 v[94:95], v[9:10], -v[31:32]
	v_add_f64 v[9:10], v[9:10], v[31:32]
	v_fma_f64 v[31:32], v[41:42], s[20:21], v[5:6]
	v_fma_f64 v[86:87], v[96:97], s[16:17], v[68:69]
	;; [unrolled: 1-line block ×4, first 2 shown]
	v_add_f64 v[41:42], v[80:81], v[76:77]
	v_add_f64 v[76:77], v[90:91], v[88:89]
	;; [unrolled: 1-line block ×3, first 2 shown]
	v_add_f64 v[7:8], v[7:8], -v[29:30]
	v_mul_f64 v[29:30], v[94:95], s[4:5]
	v_mul_f64 v[88:89], v[9:10], s[6:7]
	v_add_f64 v[64:65], v[82:83], v[64:65]
	v_add_f64 v[31:32], v[31:32], v[47:48]
	v_mul_f64 v[47:48], v[94:95], s[36:37]
	v_mul_f64 v[82:83], v[9:10], s[28:29]
	v_add_f64 v[37:38], v[102:103], v[37:38]
	v_add_f64 v[74:75], v[74:75], v[84:85]
	;; [unrolled: 1-line block ×3, first 2 shown]
	v_fma_f64 v[84:85], v[80:81], s[6:7], v[29:30]
	v_fma_f64 v[86:87], v[7:8], s[22:23], v[88:89]
	v_fma_f64 v[29:30], v[80:81], s[6:7], -v[29:30]
	v_fma_f64 v[88:89], v[7:8], s[4:5], v[88:89]
	v_add_f64 v[5:6], v[5:6], v[39:40]
	v_fma_f64 v[39:40], v[80:81], s[28:29], v[47:48]
	v_fma_f64 v[90:91], v[7:8], s[26:27], v[82:83]
	v_fma_f64 v[47:48], v[80:81], s[28:29], -v[47:48]
	v_add_f64 v[19:20], v[84:85], v[19:20]
	v_add_f64 v[37:38], v[86:87], v[37:38]
	v_mul_f64 v[84:85], v[94:95], s[24:25]
	v_add_f64 v[29:30], v[29:30], v[33:34]
	v_add_f64 v[33:34], v[88:89], v[35:36]
	v_mul_f64 v[35:36], v[9:10], s[12:13]
	v_add_f64 v[39:40], v[39:40], v[45:46]
	v_add_f64 v[45:46], v[90:91], v[66:67]
	v_fma_f64 v[66:67], v[7:8], s[36:37], v[82:83]
	v_mul_f64 v[86:87], v[94:95], s[20:21]
	v_mul_f64 v[88:89], v[9:10], s[16:17]
	v_fma_f64 v[82:83], v[80:81], s[12:13], v[84:85]
	v_add_f64 v[47:48], v[47:48], v[60:61]
	v_fma_f64 v[90:91], v[7:8], s[10:11], v[35:36]
	v_fma_f64 v[35:36], v[7:8], s[24:25], v[35:36]
	v_fma_f64 v[84:85], v[80:81], s[12:13], -v[84:85]
	v_add_f64 v[23:24], v[66:67], v[23:24]
	v_fma_f64 v[60:61], v[80:81], s[16:17], v[86:87]
	v_fma_f64 v[66:67], v[7:8], s[30:31], v[88:89]
	v_add_f64 v[49:50], v[82:83], v[49:50]
	v_mul_f64 v[82:83], v[94:95], s[14:15]
	v_mul_f64 v[9:10], v[9:10], s[18:19]
	v_add_f64 v[35:36], v[35:36], v[72:73]
	v_fma_f64 v[72:73], v[80:81], s[16:17], -v[86:87]
	v_fma_f64 v[68:69], v[96:97], s[16:17], -v[68:69]
	v_add_f64 v[41:42], v[60:61], v[41:42]
	v_add_f64 v[60:61], v[66:67], v[76:77]
	v_add_f64 v[66:67], v[13:14], -v[27:28]
	v_add_f64 v[13:14], v[13:14], v[27:28]
	v_add_f64 v[62:63], v[84:85], v[62:63]
	v_fma_f64 v[27:28], v[7:8], s[20:21], v[88:89]
	v_add_f64 v[64:65], v[72:73], v[64:65]
	v_fma_f64 v[72:73], v[80:81], s[18:19], v[82:83]
	v_fma_f64 v[76:77], v[7:8], s[34:35], v[9:10]
	v_add_f64 v[84:85], v[11:12], v[25:26]
	v_add_f64 v[11:12], v[11:12], -v[25:26]
	v_mul_f64 v[25:26], v[66:67], s[14:15]
	v_mul_f64 v[86:87], v[13:14], s[18:19]
	v_add_f64 v[68:69], v[68:69], v[92:93]
	v_add_f64 v[27:28], v[27:28], v[74:75]
	v_fma_f64 v[74:75], v[80:81], s[18:19], -v[82:83]
	v_fma_f64 v[7:8], v[7:8], s[14:15], v[9:10]
	v_add_f64 v[9:10], v[72:73], v[78:79]
	v_add_f64 v[31:32], v[76:77], v[31:32]
	v_mul_f64 v[72:73], v[66:67], s[22:23]
	v_fma_f64 v[76:77], v[84:85], s[18:19], v[25:26]
	v_fma_f64 v[78:79], v[11:12], s[34:35], v[86:87]
	v_fma_f64 v[25:26], v[84:85], s[18:19], -v[25:26]
	v_mul_f64 v[80:81], v[13:14], s[6:7]
	v_add_f64 v[68:69], v[74:75], v[68:69]
	v_add_f64 v[74:75], v[7:8], v[5:6]
	v_fma_f64 v[82:83], v[11:12], s[14:15], v[86:87]
	v_fma_f64 v[5:6], v[84:85], s[6:7], v[72:73]
	v_add_f64 v[7:8], v[76:77], v[19:20]
	v_add_f64 v[19:20], v[78:79], v[37:38]
	;; [unrolled: 1-line block ×3, first 2 shown]
	v_fma_f64 v[29:30], v[11:12], s[4:5], v[80:81]
	v_mul_f64 v[37:38], v[66:67], s[20:21]
	v_mul_f64 v[76:77], v[13:14], s[16:17]
	v_add_f64 v[70:71], v[90:91], v[70:71]
	v_add_f64 v[39:40], v[5:6], v[39:40]
	v_fma_f64 v[5:6], v[84:85], s[6:7], -v[72:73]
	v_add_f64 v[33:34], v[82:83], v[33:34]
	v_mul_f64 v[72:73], v[66:67], s[26:27]
	v_add_f64 v[29:30], v[29:30], v[45:46]
	v_fma_f64 v[45:46], v[11:12], s[22:23], v[80:81]
	v_fma_f64 v[80:81], v[84:85], s[16:17], v[37:38]
	v_fma_f64 v[37:38], v[84:85], s[16:17], -v[37:38]
	v_mul_f64 v[78:79], v[13:14], s[28:29]
	v_fma_f64 v[82:83], v[11:12], s[30:31], v[76:77]
	v_fma_f64 v[76:77], v[11:12], s[20:21], v[76:77]
	v_add_f64 v[47:48], v[5:6], v[47:48]
	v_mul_f64 v[5:6], v[66:67], s[24:25]
	v_add_f64 v[66:67], v[17:18], v[21:22]
	v_fma_f64 v[86:87], v[84:85], s[28:29], v[72:73]
	v_add_f64 v[37:38], v[37:38], v[62:63]
	v_add_f64 v[62:63], v[17:18], -v[21:22]
	v_add_f64 v[23:24], v[45:46], v[23:24]
	v_add_f64 v[45:46], v[80:81], v[49:50]
	;; [unrolled: 1-line block ×4, first 2 shown]
	v_fma_f64 v[17:18], v[84:85], s[28:29], -v[72:73]
	v_fma_f64 v[21:22], v[11:12], s[26:27], v[78:79]
	v_mul_f64 v[13:14], v[13:14], s[12:13]
	v_add_f64 v[70:71], v[15:16], v[43:44]
	v_add_f64 v[43:44], v[15:16], -v[43:44]
	v_mul_f64 v[15:16], v[62:63], s[26:27]
	v_fma_f64 v[72:73], v[84:85], s[12:13], v[5:6]
	v_mul_f64 v[76:77], v[66:67], s[28:29]
	v_fma_f64 v[88:89], v[11:12], s[36:37], v[78:79]
	v_add_f64 v[64:65], v[17:18], v[64:65]
	v_add_f64 v[78:79], v[21:22], v[27:28]
	v_fma_f64 v[5:6], v[84:85], s[12:13], -v[5:6]
	v_fma_f64 v[17:18], v[11:12], s[10:11], v[13:14]
	v_fma_f64 v[13:14], v[11:12], s[24:25], v[13:14]
	;; [unrolled: 1-line block ×3, first 2 shown]
	v_add_f64 v[72:73], v[72:73], v[9:10]
	v_fma_f64 v[9:10], v[43:44], s[36:37], v[76:77]
	v_mul_f64 v[27:28], v[66:67], s[16:17]
	v_fma_f64 v[15:16], v[70:71], s[28:29], -v[15:16]
	v_mul_f64 v[21:22], v[62:63], s[30:31]
	v_add_f64 v[80:81], v[17:18], v[31:32]
	v_add_f64 v[68:69], v[5:6], v[68:69]
	v_add_f64 v[5:6], v[11:12], v[7:8]
	v_fma_f64 v[17:18], v[43:44], s[26:27], v[76:77]
	v_add_f64 v[7:8], v[9:10], v[19:20]
	v_fma_f64 v[31:32], v[43:44], s[20:21], v[27:28]
	v_add_f64 v[9:10], v[15:16], v[25:26]
	v_mul_f64 v[25:26], v[62:63], s[14:15]
	v_mul_f64 v[76:77], v[66:67], s[18:19]
	v_fma_f64 v[19:20], v[70:71], s[16:17], v[21:22]
	v_fma_f64 v[21:22], v[70:71], s[16:17], -v[21:22]
	v_fma_f64 v[27:28], v[43:44], s[30:31], v[27:28]
	v_add_f64 v[11:12], v[17:18], v[33:34]
	v_add_f64 v[15:16], v[31:32], v[29:30]
	;; [unrolled: 1-line block ×3, first 2 shown]
	v_fma_f64 v[29:30], v[70:71], s[18:19], v[25:26]
	v_fma_f64 v[31:32], v[43:44], s[34:35], v[76:77]
	v_add_f64 v[13:14], v[19:20], v[39:40]
	v_add_f64 v[17:18], v[21:22], v[47:48]
	v_fma_f64 v[25:26], v[70:71], s[18:19], -v[25:26]
	v_mul_f64 v[39:40], v[66:67], s[12:13]
	v_add_f64 v[19:20], v[27:28], v[23:24]
	v_fma_f64 v[27:28], v[43:44], s[14:15], v[76:77]
	v_add_f64 v[21:22], v[29:30], v[45:46]
	v_mul_f64 v[29:30], v[62:63], s[4:5]
	v_mul_f64 v[33:34], v[62:63], s[24:25]
	v_add_f64 v[23:24], v[31:32], v[49:50]
	v_mul_f64 v[31:32], v[66:67], s[6:7]
	v_add_f64 v[60:61], v[88:89], v[60:61]
	v_add_f64 v[25:26], v[25:26], v[37:38]
	v_fma_f64 v[37:38], v[43:44], s[10:11], v[39:40]
	v_add_f64 v[41:42], v[86:87], v[41:42]
	v_fma_f64 v[45:46], v[70:71], s[6:7], v[29:30]
	;; [unrolled: 2-line block ×3, first 2 shown]
	v_fma_f64 v[39:40], v[43:44], s[24:25], v[39:40]
	v_fma_f64 v[47:48], v[43:44], s[22:23], v[31:32]
	v_fma_f64 v[49:50], v[70:71], s[6:7], -v[29:30]
	v_fma_f64 v[43:44], v[43:44], s[4:5], v[31:32]
	v_fma_f64 v[33:34], v[70:71], s[12:13], -v[33:34]
	v_add_f64 v[31:32], v[37:38], v[60:61]
	v_add_f64 v[37:38], v[45:46], v[72:73]
	v_lshrrev_b32_e32 v45, 3, v52
	v_add_f64 v[29:30], v[35:36], v[41:42]
	v_mul_u32_u24_e32 v45, 0x58, v45
	v_add_f64 v[35:36], v[39:40], v[78:79]
	v_add_f64 v[39:40], v[47:48], v[80:81]
	v_or_b32_e32 v0, v45, v0
	v_add_f64 v[41:42], v[49:50], v[68:69]
	v_add_f64 v[43:44], v[43:44], v[74:75]
	v_lshlrev_b32_e32 v0, 4, v0
	v_add_f64 v[33:34], v[33:34], v[64:65]
	v_add3_u32 v0, 0, v0, v58
	ds_write_b128 v0, v[1:4]
	ds_write_b128 v0, v[5:8] offset:128
	ds_write_b128 v0, v[13:16] offset:256
	;; [unrolled: 1-line block ×10, first 2 shown]
	v_mul_u32_u24_e32 v0, 10, v52
	v_lshlrev_b32_e32 v40, 4, v0
	s_waitcnt lgkmcnt(0)
	s_barrier
	global_load_dwordx4 v[0:3], v40, s[8:9] offset:1376
	global_load_dwordx4 v[4:7], v40, s[8:9] offset:1392
	;; [unrolled: 1-line block ×10, first 2 shown]
	ds_read_b128 v[40:43], v59 offset:1408
	ds_read_b128 v[44:47], v59 offset:2816
	;; [unrolled: 1-line block ×4, first 2 shown]
	s_waitcnt vmcnt(9) lgkmcnt(3)
	v_mul_f64 v[64:65], v[42:43], v[2:3]
	v_mul_f64 v[2:3], v[40:41], v[2:3]
	s_waitcnt vmcnt(8) lgkmcnt(2)
	v_mul_f64 v[66:67], v[46:47], v[6:7]
	v_mul_f64 v[6:7], v[44:45], v[6:7]
	v_fma_f64 v[64:65], v[40:41], v[0:1], v[64:65]
	v_fma_f64 v[68:69], v[42:43], v[0:1], -v[2:3]
	ds_read_b128 v[40:43], v57
	v_fma_f64 v[44:45], v[44:45], v[4:5], v[66:67]
	s_waitcnt vmcnt(7) lgkmcnt(1)
	v_mul_f64 v[57:58], v[62:63], v[10:11]
	v_mul_f64 v[10:11], v[60:61], v[10:11]
	ds_read_b128 v[0:3], v59 offset:5632
	v_fma_f64 v[46:47], v[46:47], v[4:5], -v[6:7]
	s_waitcnt lgkmcnt(1)
	v_add_f64 v[66:67], v[40:41], v[64:65]
	v_add_f64 v[70:71], v[42:43], v[68:69]
	ds_read_b128 v[4:7], v53 offset:7040
	s_waitcnt vmcnt(6) lgkmcnt(1)
	v_mul_f64 v[72:73], v[2:3], v[14:15]
	v_mul_f64 v[14:15], v[0:1], v[14:15]
	v_fma_f64 v[57:58], v[60:61], v[8:9], v[57:58]
	v_fma_f64 v[59:60], v[62:63], v[8:9], -v[10:11]
	v_add_f64 v[8:9], v[66:67], v[44:45]
	v_add_f64 v[10:11], v[70:71], v[46:47]
	v_fma_f64 v[61:62], v[0:1], v[12:13], v[72:73]
	v_fma_f64 v[66:67], v[2:3], v[12:13], -v[14:15]
	ds_read_b128 v[0:3], v53 offset:8448
	s_waitcnt vmcnt(5) lgkmcnt(1)
	v_mul_f64 v[70:71], v[6:7], v[18:19]
	v_mul_f64 v[18:19], v[4:5], v[18:19]
	v_add_f64 v[72:73], v[8:9], v[57:58]
	v_add_f64 v[10:11], v[10:11], v[59:60]
	s_waitcnt vmcnt(4) lgkmcnt(0)
	v_mul_f64 v[74:75], v[2:3], v[22:23]
	v_mul_f64 v[22:23], v[0:1], v[22:23]
	ds_read_b128 v[12:15], v53 offset:9856
	v_fma_f64 v[4:5], v[4:5], v[16:17], v[70:71]
	v_fma_f64 v[8:9], v[6:7], v[16:17], -v[18:19]
	v_add_f64 v[16:17], v[72:73], v[61:62]
	v_add_f64 v[18:19], v[10:11], v[66:67]
	v_fma_f64 v[6:7], v[0:1], v[20:21], v[74:75]
	v_fma_f64 v[10:11], v[2:3], v[20:21], -v[22:23]
	ds_read_b128 v[0:3], v53 offset:11264
	s_waitcnt vmcnt(3) lgkmcnt(1)
	v_mul_f64 v[70:71], v[14:15], v[26:27]
	v_mul_f64 v[26:27], v[12:13], v[26:27]
	v_add_f64 v[20:21], v[16:17], v[4:5]
	v_add_f64 v[22:23], v[18:19], v[8:9]
	s_waitcnt vmcnt(2) lgkmcnt(0)
	v_mul_f64 v[72:73], v[2:3], v[30:31]
	ds_read_b128 v[16:19], v53 offset:12672
	v_mul_f64 v[30:31], v[0:1], v[30:31]
	v_fma_f64 v[12:13], v[12:13], v[24:25], v[70:71]
	v_fma_f64 v[14:15], v[14:15], v[24:25], -v[26:27]
	s_waitcnt vmcnt(1)
	v_mul_f64 v[24:25], v[48:49], v[34:35]
	v_add_f64 v[20:21], v[20:21], v[6:7]
	v_add_f64 v[22:23], v[22:23], v[10:11]
	v_fma_f64 v[26:27], v[0:1], v[28:29], v[72:73]
	s_waitcnt vmcnt(0) lgkmcnt(0)
	v_mul_f64 v[0:1], v[18:19], v[38:39]
	v_fma_f64 v[28:29], v[2:3], v[28:29], -v[30:31]
	v_mul_f64 v[2:3], v[16:17], v[38:39]
	v_mul_f64 v[30:31], v[50:51], v[34:35]
	v_fma_f64 v[24:25], v[50:51], v[32:33], -v[24:25]
	v_add_f64 v[20:21], v[20:21], v[12:13]
	v_add_f64 v[22:23], v[22:23], v[14:15]
	v_fma_f64 v[16:17], v[16:17], v[36:37], v[0:1]
	s_barrier
	v_fma_f64 v[18:19], v[18:19], v[36:37], -v[2:3]
	v_add_f64 v[0:1], v[20:21], v[26:27]
	v_add_f64 v[2:3], v[22:23], v[28:29]
	v_fma_f64 v[20:21], v[48:49], v[32:33], v[30:31]
	v_add_f64 v[22:23], v[68:69], -v[24:25]
	v_add_f64 v[30:31], v[68:69], v[24:25]
	v_add_f64 v[0:1], v[0:1], v[16:17]
	;; [unrolled: 1-line block ×4, first 2 shown]
	v_mul_f64 v[34:35], v[22:23], s[20:21]
	v_add_f64 v[36:37], v[64:65], -v[20:21]
	v_mul_f64 v[38:39], v[30:31], s[16:17]
	v_mul_f64 v[48:49], v[22:23], s[10:11]
	;; [unrolled: 1-line block ×3, first 2 shown]
	v_add_f64 v[0:1], v[0:1], v[20:21]
	v_mul_f64 v[20:21], v[22:23], s[4:5]
	v_mul_f64 v[22:23], v[22:23], s[26:27]
	;; [unrolled: 1-line block ×4, first 2 shown]
	v_add_f64 v[2:3], v[2:3], v[24:25]
	v_fma_f64 v[24:25], v[32:33], s[16:17], v[34:35]
	v_fma_f64 v[34:35], v[32:33], s[16:17], -v[34:35]
	v_fma_f64 v[63:64], v[32:33], s[12:13], v[48:49]
	v_fma_f64 v[48:49], v[32:33], s[12:13], -v[48:49]
	;; [unrolled: 2-line block ×5, first 2 shown]
	v_mul_f64 v[32:33], v[30:31], s[18:19]
	v_mul_f64 v[30:31], v[30:31], s[28:29]
	v_fma_f64 v[78:79], v[36:37], s[30:31], v[38:39]
	v_fma_f64 v[80:81], v[36:37], s[24:25], v[68:69]
	;; [unrolled: 1-line block ×10, first 2 shown]
	v_add_f64 v[36:37], v[42:43], v[78:79]
	v_add_f64 v[78:79], v[42:43], v[80:81]
	;; [unrolled: 1-line block ×3, first 2 shown]
	v_add_f64 v[82:83], v[46:47], -v[18:19]
	v_add_f64 v[18:19], v[46:47], v[18:19]
	v_add_f64 v[46:47], v[42:43], v[76:77]
	;; [unrolled: 1-line block ×4, first 2 shown]
	v_add_f64 v[16:17], v[44:45], -v[16:17]
	v_add_f64 v[24:25], v[40:41], v[24:25]
	v_add_f64 v[34:35], v[40:41], v[34:35]
	v_mul_f64 v[44:45], v[82:83], s[10:11]
	v_mul_f64 v[88:89], v[18:19], s[12:13]
	v_mul_f64 v[90:91], v[82:83], s[14:15]
	v_mul_f64 v[92:93], v[18:19], s[18:19]
	v_add_f64 v[38:39], v[42:43], v[38:39]
	v_add_f64 v[63:64], v[40:41], v[63:64]
	;; [unrolled: 1-line block ×4, first 2 shown]
	v_fma_f64 v[94:95], v[84:85], s[12:13], v[44:45]
	v_fma_f64 v[96:97], v[16:17], s[24:25], v[88:89]
	v_add_f64 v[70:71], v[40:41], v[70:71]
	v_add_f64 v[20:21], v[40:41], v[20:21]
	;; [unrolled: 1-line block ×9, first 2 shown]
	v_fma_f64 v[40:41], v[84:85], s[12:13], -v[44:45]
	v_fma_f64 v[42:43], v[16:17], s[10:11], v[88:89]
	v_fma_f64 v[44:45], v[84:85], s[18:19], v[90:91]
	;; [unrolled: 1-line block ×3, first 2 shown]
	v_add_f64 v[24:25], v[94:95], v[24:25]
	v_add_f64 v[36:37], v[96:97], v[36:37]
	v_mul_f64 v[94:95], v[82:83], s[36:37]
	v_mul_f64 v[96:97], v[18:19], s[28:29]
	v_add_f64 v[34:35], v[40:41], v[34:35]
	v_add_f64 v[38:39], v[42:43], v[38:39]
	;; [unrolled: 1-line block ×4, first 2 shown]
	v_fma_f64 v[44:45], v[84:85], s[18:19], -v[90:91]
	v_fma_f64 v[63:64], v[16:17], s[14:15], v[92:93]
	v_fma_f64 v[78:79], v[84:85], s[28:29], v[94:95]
	;; [unrolled: 1-line block ×3, first 2 shown]
	v_mul_f64 v[90:91], v[82:83], s[22:23]
	v_mul_f64 v[92:93], v[18:19], s[6:7]
	;; [unrolled: 1-line block ×3, first 2 shown]
	v_fma_f64 v[96:97], v[16:17], s[36:37], v[96:97]
	v_add_f64 v[44:45], v[44:45], v[48:49]
	v_add_f64 v[48:49], v[63:64], v[68:69]
	;; [unrolled: 1-line block ×4, first 2 shown]
	v_fma_f64 v[70:71], v[84:85], s[6:7], v[90:91]
	v_fma_f64 v[78:79], v[16:17], s[4:5], v[92:93]
	v_mul_f64 v[80:81], v[82:83], s[30:31]
	v_fma_f64 v[82:83], v[84:85], s[6:7], -v[90:91]
	v_fma_f64 v[88:89], v[16:17], s[22:23], v[92:93]
	v_fma_f64 v[94:95], v[84:85], s[28:29], -v[94:95]
	v_add_f64 v[46:47], v[96:97], v[46:47]
	v_add_f64 v[70:71], v[70:71], v[72:73]
	;; [unrolled: 1-line block ×3, first 2 shown]
	v_add_f64 v[76:77], v[59:60], -v[28:29]
	v_add_f64 v[28:29], v[59:60], v[28:29]
	v_fma_f64 v[59:60], v[84:85], s[16:17], v[80:81]
	v_fma_f64 v[78:79], v[16:17], s[20:21], v[18:19]
	v_add_f64 v[50:51], v[82:83], v[50:51]
	v_add_f64 v[82:83], v[57:58], v[26:27]
	v_add_f64 v[26:27], v[57:58], -v[26:27]
	v_fma_f64 v[16:17], v[16:17], s[30:31], v[18:19]
	v_mul_f64 v[57:58], v[76:77], s[4:5]
	v_add_f64 v[32:33], v[88:89], v[32:33]
	v_add_f64 v[59:60], v[59:60], v[74:75]
	v_fma_f64 v[74:75], v[84:85], s[16:17], -v[80:81]
	v_add_f64 v[18:19], v[78:79], v[86:87]
	v_mul_f64 v[78:79], v[76:77], s[36:37]
	v_mul_f64 v[80:81], v[28:29], s[28:29]
	;; [unrolled: 1-line block ×3, first 2 shown]
	v_fma_f64 v[84:85], v[82:83], s[6:7], v[57:58]
	v_fma_f64 v[57:58], v[82:83], s[6:7], -v[57:58]
	v_add_f64 v[16:17], v[16:17], v[30:31]
	v_add_f64 v[22:23], v[74:75], v[22:23]
	;; [unrolled: 1-line block ×3, first 2 shown]
	v_fma_f64 v[30:31], v[82:83], s[28:29], v[78:79]
	v_fma_f64 v[74:75], v[26:27], s[26:27], v[80:81]
	v_fma_f64 v[86:87], v[26:27], s[22:23], v[88:89]
	v_fma_f64 v[88:89], v[26:27], s[4:5], v[88:89]
	v_add_f64 v[34:35], v[57:58], v[34:35]
	v_mul_f64 v[57:58], v[76:77], s[24:25]
	v_add_f64 v[24:25], v[84:85], v[24:25]
	v_mul_f64 v[84:85], v[28:29], s[12:13]
	v_add_f64 v[30:31], v[30:31], v[40:41]
	v_add_f64 v[40:41], v[74:75], v[42:43]
	v_fma_f64 v[42:43], v[82:83], s[28:29], -v[78:79]
	v_mul_f64 v[74:75], v[76:77], s[20:21]
	v_mul_f64 v[78:79], v[28:29], s[16:17]
	v_add_f64 v[36:37], v[86:87], v[36:37]
	v_fma_f64 v[86:87], v[82:83], s[12:13], v[57:58]
	v_fma_f64 v[57:58], v[82:83], s[12:13], -v[57:58]
	v_add_f64 v[38:39], v[88:89], v[38:39]
	v_fma_f64 v[80:81], v[26:27], s[36:37], v[80:81]
	v_add_f64 v[42:43], v[42:43], v[44:45]
	v_fma_f64 v[44:45], v[82:83], s[16:17], v[74:75]
	v_fma_f64 v[90:91], v[26:27], s[30:31], v[78:79]
	;; [unrolled: 1-line block ×4, first 2 shown]
	v_add_f64 v[20:21], v[57:58], v[20:21]
	v_mul_f64 v[57:58], v[76:77], s[14:15]
	v_mul_f64 v[28:29], v[28:29], s[18:19]
	v_add_f64 v[48:49], v[80:81], v[48:49]
	v_add_f64 v[44:45], v[44:45], v[70:71]
	;; [unrolled: 1-line block ×3, first 2 shown]
	v_add_f64 v[72:73], v[66:67], -v[14:15]
	v_add_f64 v[14:15], v[66:67], v[14:15]
	v_add_f64 v[46:47], v[84:85], v[46:47]
	v_fma_f64 v[65:66], v[82:83], s[16:17], -v[74:75]
	v_fma_f64 v[74:75], v[26:27], s[20:21], v[78:79]
	v_fma_f64 v[76:77], v[82:83], s[18:19], v[57:58]
	v_add_f64 v[78:79], v[61:62], v[12:13]
	v_add_f64 v[12:13], v[61:62], -v[12:13]
	v_fma_f64 v[61:62], v[26:27], s[34:35], v[28:29]
	v_mul_f64 v[80:81], v[72:73], s[14:15]
	v_mul_f64 v[84:85], v[14:15], s[18:19]
	v_add_f64 v[50:51], v[65:66], v[50:51]
	v_fma_f64 v[57:58], v[82:83], s[18:19], -v[57:58]
	v_add_f64 v[59:60], v[76:77], v[59:60]
	v_fma_f64 v[26:27], v[26:27], s[14:15], v[28:29]
	v_mul_f64 v[65:66], v[72:73], s[22:23]
	v_add_f64 v[18:19], v[61:62], v[18:19]
	v_fma_f64 v[28:29], v[78:79], s[18:19], v[80:81]
	v_fma_f64 v[61:62], v[12:13], s[34:35], v[84:85]
	v_mul_f64 v[76:77], v[14:15], s[6:7]
	v_add_f64 v[32:33], v[74:75], v[32:33]
	v_fma_f64 v[74:75], v[78:79], s[18:19], -v[80:81]
	v_fma_f64 v[80:81], v[12:13], s[14:15], v[84:85]
	v_add_f64 v[22:23], v[57:58], v[22:23]
	v_add_f64 v[16:17], v[26:27], v[16:17]
	;; [unrolled: 1-line block ×4, first 2 shown]
	v_fma_f64 v[28:29], v[78:79], s[6:7], v[65:66]
	v_fma_f64 v[36:37], v[12:13], s[4:5], v[76:77]
	v_mul_f64 v[57:58], v[72:73], s[20:21]
	v_add_f64 v[63:64], v[86:87], v[63:64]
	v_add_f64 v[38:39], v[80:81], v[38:39]
	v_mul_f64 v[61:62], v[14:15], s[16:17]
	v_fma_f64 v[65:66], v[78:79], s[6:7], -v[65:66]
	v_mul_f64 v[80:81], v[14:15], s[28:29]
	v_add_f64 v[28:29], v[28:29], v[30:31]
	v_add_f64 v[30:31], v[36:37], v[40:41]
	v_fma_f64 v[36:37], v[78:79], s[16:17], v[57:58]
	v_add_f64 v[68:69], v[88:89], v[68:69]
	v_add_f64 v[34:35], v[74:75], v[34:35]
	v_fma_f64 v[74:75], v[12:13], s[22:23], v[76:77]
	v_mul_f64 v[76:77], v[72:73], s[26:27]
	v_fma_f64 v[40:41], v[12:13], s[30:31], v[61:62]
	v_fma_f64 v[57:58], v[78:79], s[16:17], -v[57:58]
	v_fma_f64 v[61:62], v[12:13], s[20:21], v[61:62]
	v_fma_f64 v[84:85], v[12:13], s[36:37], v[80:81]
	v_add_f64 v[42:43], v[65:66], v[42:43]
	v_add_f64 v[36:37], v[36:37], v[63:64]
	v_add_f64 v[63:64], v[8:9], -v[10:11]
	v_add_f64 v[65:66], v[8:9], v[10:11]
	v_mul_f64 v[10:11], v[14:15], s[12:13]
	v_mul_f64 v[8:9], v[72:73], s[24:25]
	v_add_f64 v[48:49], v[74:75], v[48:49]
	v_add_f64 v[40:41], v[40:41], v[68:69]
	;; [unrolled: 1-line block ×5, first 2 shown]
	v_fma_f64 v[14:15], v[78:79], s[28:29], -v[76:77]
	v_fma_f64 v[20:21], v[12:13], s[26:27], v[80:81]
	v_add_f64 v[67:68], v[4:5], v[6:7]
	v_add_f64 v[69:70], v[4:5], -v[6:7]
	v_mul_f64 v[71:72], v[63:64], s[26:27]
	v_mul_f64 v[73:74], v[65:66], s[28:29]
	v_fma_f64 v[6:7], v[12:13], s[10:11], v[10:11]
	v_fma_f64 v[4:5], v[78:79], s[12:13], v[8:9]
	v_fma_f64 v[8:9], v[78:79], s[12:13], -v[8:9]
	v_fma_f64 v[82:83], v[78:79], s[28:29], v[76:77]
	v_add_f64 v[50:51], v[14:15], v[50:51]
	v_add_f64 v[75:76], v[20:21], v[32:33]
	v_fma_f64 v[10:11], v[12:13], s[24:25], v[10:11]
	v_fma_f64 v[12:13], v[67:68], s[28:29], v[71:72]
	v_fma_f64 v[14:15], v[69:70], s[36:37], v[73:74]
	v_add_f64 v[77:78], v[6:7], v[18:19]
	v_mul_f64 v[18:19], v[63:64], s[30:31]
	v_mul_f64 v[20:21], v[65:66], s[16:17]
	v_add_f64 v[79:80], v[8:9], v[22:23]
	v_mul_f64 v[22:23], v[63:64], s[14:15]
	v_add_f64 v[59:60], v[4:5], v[59:60]
	v_add_f64 v[4:5], v[12:13], v[24:25]
	;; [unrolled: 1-line block ×3, first 2 shown]
	v_fma_f64 v[8:9], v[67:68], s[28:29], -v[71:72]
	v_fma_f64 v[12:13], v[67:68], s[16:17], v[18:19]
	v_fma_f64 v[14:15], v[69:70], s[20:21], v[20:21]
	v_mul_f64 v[24:25], v[65:66], s[18:19]
	v_add_f64 v[44:45], v[82:83], v[44:45]
	v_add_f64 v[81:82], v[10:11], v[16:17]
	v_fma_f64 v[10:11], v[69:70], s[26:27], v[73:74]
	v_fma_f64 v[16:17], v[67:68], s[16:17], -v[18:19]
	v_fma_f64 v[18:19], v[69:70], s[30:31], v[20:21]
	v_fma_f64 v[20:21], v[67:68], s[18:19], v[22:23]
	v_add_f64 v[8:9], v[8:9], v[34:35]
	v_add_f64 v[12:13], v[12:13], v[28:29]
	;; [unrolled: 1-line block ×3, first 2 shown]
	v_fma_f64 v[26:27], v[69:70], s[34:35], v[24:25]
	v_fma_f64 v[28:29], v[67:68], s[18:19], -v[22:23]
	v_fma_f64 v[30:31], v[69:70], s[14:15], v[24:25]
	v_mul_f64 v[32:33], v[63:64], s[24:25]
	v_mul_f64 v[34:35], v[65:66], s[12:13]
	v_add_f64 v[10:11], v[10:11], v[38:39]
	v_add_f64 v[20:21], v[20:21], v[36:37]
	v_mul_f64 v[36:37], v[63:64], s[4:5]
	v_mul_f64 v[38:39], v[65:66], s[6:7]
	v_add_f64 v[22:23], v[26:27], v[40:41]
	v_add_f64 v[24:25], v[28:29], v[57:58]
	;; [unrolled: 1-line block ×3, first 2 shown]
	v_fma_f64 v[28:29], v[67:68], s[12:13], v[32:33]
	v_fma_f64 v[30:31], v[69:70], s[10:11], v[34:35]
	v_add_f64 v[16:17], v[16:17], v[42:43]
	v_fma_f64 v[40:41], v[67:68], s[6:7], v[36:37]
	v_fma_f64 v[42:43], v[69:70], s[22:23], v[38:39]
	v_add_f64 v[18:19], v[18:19], v[48:49]
	v_fma_f64 v[46:47], v[67:68], s[6:7], -v[36:37]
	v_fma_f64 v[48:49], v[69:70], s[4:5], v[38:39]
	v_fma_f64 v[32:33], v[67:68], s[12:13], -v[32:33]
	v_fma_f64 v[34:35], v[69:70], s[24:25], v[34:35]
	v_add_f64 v[28:29], v[28:29], v[44:45]
	v_add_f64 v[30:31], v[30:31], v[61:62]
	;; [unrolled: 1-line block ×8, first 2 shown]
	ds_write_b128 v53, v[0:3]
	ds_write_b128 v53, v[4:7] offset:1408
	ds_write_b128 v53, v[12:15] offset:2816
	;; [unrolled: 1-line block ×10, first 2 shown]
	s_waitcnt lgkmcnt(0)
	s_barrier
	s_and_saveexec_b64 s[4:5], s[0:1]
	s_cbranch_execz .LBB0_31
; %bb.30:
	v_lshl_add_u32 v10, v52, 4, v56
	v_mov_b32_e32 v53, 0
	ds_read_b128 v[0:3], v10
	v_mov_b32_e32 v4, s3
	v_add_co_u32_e32 v11, vcc, s2, v54
	v_addc_co_u32_e32 v12, vcc, v4, v55, vcc
	v_lshlrev_b64 v[4:5], 4, v[52:53]
	v_add_co_u32_e32 v8, vcc, v11, v4
	v_addc_co_u32_e32 v9, vcc, v12, v5, vcc
	ds_read_b128 v[4:7], v10 offset:1408
	s_waitcnt lgkmcnt(1)
	global_store_dwordx4 v[8:9], v[0:3], off
	s_nop 0
	v_add_u32_e32 v0, 0x58, v52
	v_mov_b32_e32 v1, v53
	v_lshlrev_b64 v[0:1], 4, v[0:1]
	v_add_co_u32_e32 v0, vcc, v11, v0
	v_addc_co_u32_e32 v1, vcc, v12, v1, vcc
	s_waitcnt lgkmcnt(0)
	global_store_dwordx4 v[0:1], v[4:7], off
	ds_read_b128 v[0:3], v10 offset:2816
	v_add_u32_e32 v4, 0xb0, v52
	v_mov_b32_e32 v5, v53
	v_lshlrev_b64 v[4:5], 4, v[4:5]
	v_add_co_u32_e32 v8, vcc, v11, v4
	v_addc_co_u32_e32 v9, vcc, v12, v5, vcc
	ds_read_b128 v[4:7], v10 offset:4224
	s_waitcnt lgkmcnt(1)
	global_store_dwordx4 v[8:9], v[0:3], off
	s_nop 0
	v_add_u32_e32 v0, 0x108, v52
	v_mov_b32_e32 v1, v53
	v_lshlrev_b64 v[0:1], 4, v[0:1]
	v_add_co_u32_e32 v0, vcc, v11, v0
	v_addc_co_u32_e32 v1, vcc, v12, v1, vcc
	s_waitcnt lgkmcnt(0)
	global_store_dwordx4 v[0:1], v[4:7], off
	ds_read_b128 v[0:3], v10 offset:5632
	v_add_u32_e32 v4, 0x160, v52
	v_mov_b32_e32 v5, v53
	;; [unrolled: 17-line block ×4, first 2 shown]
	v_lshlrev_b64 v[4:5], 4, v[4:5]
	v_add_co_u32_e32 v8, vcc, v11, v4
	v_addc_co_u32_e32 v9, vcc, v12, v5, vcc
	ds_read_b128 v[4:7], v10 offset:12672
	s_waitcnt lgkmcnt(1)
	global_store_dwordx4 v[8:9], v[0:3], off
	s_nop 0
	v_add_u32_e32 v0, 0x318, v52
	v_mov_b32_e32 v1, v53
	v_lshlrev_b64 v[0:1], 4, v[0:1]
	v_add_u32_e32 v52, 0x370, v52
	v_add_co_u32_e32 v0, vcc, v11, v0
	v_addc_co_u32_e32 v1, vcc, v12, v1, vcc
	s_waitcnt lgkmcnt(0)
	global_store_dwordx4 v[0:1], v[4:7], off
	ds_read_b128 v[0:3], v10 offset:14080
	v_lshlrev_b64 v[4:5], 4, v[52:53]
	v_add_co_u32_e32 v4, vcc, v11, v4
	v_addc_co_u32_e32 v5, vcc, v12, v5, vcc
	s_waitcnt lgkmcnt(0)
	global_store_dwordx4 v[4:5], v[0:3], off
.LBB0_31:
	s_endpgm
	.section	.rodata,"a",@progbits
	.p2align	6, 0x0
	.amdhsa_kernel fft_rtc_back_len968_factors_2_2_2_11_11_wgs_176_tpt_88_dp_ip_CI_unitstride_sbrr_C2R_dirReg
		.amdhsa_group_segment_fixed_size 0
		.amdhsa_private_segment_fixed_size 0
		.amdhsa_kernarg_size 88
		.amdhsa_user_sgpr_count 6
		.amdhsa_user_sgpr_private_segment_buffer 1
		.amdhsa_user_sgpr_dispatch_ptr 0
		.amdhsa_user_sgpr_queue_ptr 0
		.amdhsa_user_sgpr_kernarg_segment_ptr 1
		.amdhsa_user_sgpr_dispatch_id 0
		.amdhsa_user_sgpr_flat_scratch_init 0
		.amdhsa_user_sgpr_private_segment_size 0
		.amdhsa_uses_dynamic_stack 0
		.amdhsa_system_sgpr_private_segment_wavefront_offset 0
		.amdhsa_system_sgpr_workgroup_id_x 1
		.amdhsa_system_sgpr_workgroup_id_y 0
		.amdhsa_system_sgpr_workgroup_id_z 0
		.amdhsa_system_sgpr_workgroup_info 0
		.amdhsa_system_vgpr_workitem_id 0
		.amdhsa_next_free_vgpr 110
		.amdhsa_next_free_sgpr 38
		.amdhsa_reserve_vcc 1
		.amdhsa_reserve_flat_scratch 0
		.amdhsa_float_round_mode_32 0
		.amdhsa_float_round_mode_16_64 0
		.amdhsa_float_denorm_mode_32 3
		.amdhsa_float_denorm_mode_16_64 3
		.amdhsa_dx10_clamp 1
		.amdhsa_ieee_mode 1
		.amdhsa_fp16_overflow 0
		.amdhsa_exception_fp_ieee_invalid_op 0
		.amdhsa_exception_fp_denorm_src 0
		.amdhsa_exception_fp_ieee_div_zero 0
		.amdhsa_exception_fp_ieee_overflow 0
		.amdhsa_exception_fp_ieee_underflow 0
		.amdhsa_exception_fp_ieee_inexact 0
		.amdhsa_exception_int_div_zero 0
	.end_amdhsa_kernel
	.text
.Lfunc_end0:
	.size	fft_rtc_back_len968_factors_2_2_2_11_11_wgs_176_tpt_88_dp_ip_CI_unitstride_sbrr_C2R_dirReg, .Lfunc_end0-fft_rtc_back_len968_factors_2_2_2_11_11_wgs_176_tpt_88_dp_ip_CI_unitstride_sbrr_C2R_dirReg
                                        ; -- End function
	.section	.AMDGPU.csdata,"",@progbits
; Kernel info:
; codeLenInByte = 11428
; NumSgprs: 42
; NumVgprs: 110
; ScratchSize: 0
; MemoryBound: 0
; FloatMode: 240
; IeeeMode: 1
; LDSByteSize: 0 bytes/workgroup (compile time only)
; SGPRBlocks: 5
; VGPRBlocks: 27
; NumSGPRsForWavesPerEU: 42
; NumVGPRsForWavesPerEU: 110
; Occupancy: 2
; WaveLimiterHint : 1
; COMPUTE_PGM_RSRC2:SCRATCH_EN: 0
; COMPUTE_PGM_RSRC2:USER_SGPR: 6
; COMPUTE_PGM_RSRC2:TRAP_HANDLER: 0
; COMPUTE_PGM_RSRC2:TGID_X_EN: 1
; COMPUTE_PGM_RSRC2:TGID_Y_EN: 0
; COMPUTE_PGM_RSRC2:TGID_Z_EN: 0
; COMPUTE_PGM_RSRC2:TIDIG_COMP_CNT: 0
	.type	__hip_cuid_a34da97a710bbed,@object ; @__hip_cuid_a34da97a710bbed
	.section	.bss,"aw",@nobits
	.globl	__hip_cuid_a34da97a710bbed
__hip_cuid_a34da97a710bbed:
	.byte	0                               ; 0x0
	.size	__hip_cuid_a34da97a710bbed, 1

	.ident	"AMD clang version 19.0.0git (https://github.com/RadeonOpenCompute/llvm-project roc-6.4.0 25133 c7fe45cf4b819c5991fe208aaa96edf142730f1d)"
	.section	".note.GNU-stack","",@progbits
	.addrsig
	.addrsig_sym __hip_cuid_a34da97a710bbed
	.amdgpu_metadata
---
amdhsa.kernels:
  - .args:
      - .actual_access:  read_only
        .address_space:  global
        .offset:         0
        .size:           8
        .value_kind:     global_buffer
      - .offset:         8
        .size:           8
        .value_kind:     by_value
      - .actual_access:  read_only
        .address_space:  global
        .offset:         16
        .size:           8
        .value_kind:     global_buffer
      - .actual_access:  read_only
        .address_space:  global
        .offset:         24
        .size:           8
        .value_kind:     global_buffer
      - .offset:         32
        .size:           8
        .value_kind:     by_value
      - .actual_access:  read_only
        .address_space:  global
        .offset:         40
        .size:           8
        .value_kind:     global_buffer
      - .actual_access:  read_only
        .address_space:  global
        .offset:         48
        .size:           8
        .value_kind:     global_buffer
      - .offset:         56
        .size:           4
        .value_kind:     by_value
      - .actual_access:  read_only
        .address_space:  global
        .offset:         64
        .size:           8
        .value_kind:     global_buffer
      - .actual_access:  read_only
        .address_space:  global
        .offset:         72
        .size:           8
        .value_kind:     global_buffer
      - .address_space:  global
        .offset:         80
        .size:           8
        .value_kind:     global_buffer
    .group_segment_fixed_size: 0
    .kernarg_segment_align: 8
    .kernarg_segment_size: 88
    .language:       OpenCL C
    .language_version:
      - 2
      - 0
    .max_flat_workgroup_size: 176
    .name:           fft_rtc_back_len968_factors_2_2_2_11_11_wgs_176_tpt_88_dp_ip_CI_unitstride_sbrr_C2R_dirReg
    .private_segment_fixed_size: 0
    .sgpr_count:     42
    .sgpr_spill_count: 0
    .symbol:         fft_rtc_back_len968_factors_2_2_2_11_11_wgs_176_tpt_88_dp_ip_CI_unitstride_sbrr_C2R_dirReg.kd
    .uniform_work_group_size: 1
    .uses_dynamic_stack: false
    .vgpr_count:     110
    .vgpr_spill_count: 0
    .wavefront_size: 64
amdhsa.target:   amdgcn-amd-amdhsa--gfx906
amdhsa.version:
  - 1
  - 2
...

	.end_amdgpu_metadata
